;; amdgpu-corpus repo=ROCm/rocFFT kind=compiled arch=gfx1201 opt=O3
	.text
	.amdgcn_target "amdgcn-amd-amdhsa--gfx1201"
	.amdhsa_code_object_version 6
	.protected	fft_rtc_fwd_len288_factors_6_6_4_2_wgs_120_tpt_24_halfLds_sp_op_CI_CI_unitstride_sbrr_C2R_dirReg ; -- Begin function fft_rtc_fwd_len288_factors_6_6_4_2_wgs_120_tpt_24_halfLds_sp_op_CI_CI_unitstride_sbrr_C2R_dirReg
	.globl	fft_rtc_fwd_len288_factors_6_6_4_2_wgs_120_tpt_24_halfLds_sp_op_CI_CI_unitstride_sbrr_C2R_dirReg
	.p2align	8
	.type	fft_rtc_fwd_len288_factors_6_6_4_2_wgs_120_tpt_24_halfLds_sp_op_CI_CI_unitstride_sbrr_C2R_dirReg,@function
fft_rtc_fwd_len288_factors_6_6_4_2_wgs_120_tpt_24_halfLds_sp_op_CI_CI_unitstride_sbrr_C2R_dirReg: ; @fft_rtc_fwd_len288_factors_6_6_4_2_wgs_120_tpt_24_halfLds_sp_op_CI_CI_unitstride_sbrr_C2R_dirReg
; %bb.0:
	s_load_b128 s[8:11], s[0:1], 0x0
	v_mul_u32_u24_e32 v1, 0xaab, v0
	s_clause 0x1
	s_load_b128 s[4:7], s[0:1], 0x58
	s_load_b128 s[12:15], s[0:1], 0x18
	v_mov_b32_e32 v9, 0
	v_mov_b32_e32 v7, 0
	;; [unrolled: 1-line block ×3, first 2 shown]
	v_lshrrev_b32_e32 v1, 16, v1
	s_delay_alu instid0(VALU_DEP_1) | instskip(NEXT) | instid1(VALU_DEP_4)
	v_mad_co_u64_u32 v[3:4], null, ttmp9, 5, v[1:2]
	v_dual_mov_b32 v4, v9 :: v_dual_mov_b32 v1, v7
	s_delay_alu instid0(VALU_DEP_4) | instskip(NEXT) | instid1(VALU_DEP_2)
	v_mov_b32_e32 v2, v8
	v_dual_mov_b32 v6, v4 :: v_dual_mov_b32 v5, v3
	s_wait_kmcnt 0x0
	v_cmp_lt_u64_e64 s2, s[10:11], 2
	s_delay_alu instid0(VALU_DEP_1)
	s_and_b32 vcc_lo, exec_lo, s2
	s_cbranch_vccnz .LBB0_8
; %bb.1:
	s_load_b64 s[2:3], s[0:1], 0x10
	v_dual_mov_b32 v7, 0 :: v_dual_mov_b32 v12, v4
	v_dual_mov_b32 v8, 0 :: v_dual_mov_b32 v11, v3
	s_delay_alu instid0(VALU_DEP_2) | instskip(SKIP_2) | instid1(VALU_DEP_2)
	v_mov_b32_e32 v1, v7
	s_add_nc_u64 s[16:17], s[14:15], 8
	s_add_nc_u64 s[18:19], s[12:13], 8
	v_mov_b32_e32 v2, v8
	s_mov_b64 s[20:21], 1
	s_wait_kmcnt 0x0
	s_add_nc_u64 s[22:23], s[2:3], 8
	s_mov_b32 s3, 0
.LBB0_2:                                ; =>This Inner Loop Header: Depth=1
	s_load_b64 s[24:25], s[22:23], 0x0
                                        ; implicit-def: $vgpr5_vgpr6
	s_mov_b32 s2, exec_lo
	s_wait_kmcnt 0x0
	v_or_b32_e32 v10, s25, v12
	s_delay_alu instid0(VALU_DEP_1)
	v_cmpx_ne_u64_e32 0, v[9:10]
	s_wait_alu 0xfffe
	s_xor_b32 s26, exec_lo, s2
	s_cbranch_execz .LBB0_4
; %bb.3:                                ;   in Loop: Header=BB0_2 Depth=1
	s_cvt_f32_u32 s2, s24
	s_cvt_f32_u32 s27, s25
	s_sub_nc_u64 s[30:31], 0, s[24:25]
	s_wait_alu 0xfffe
	s_delay_alu instid0(SALU_CYCLE_1) | instskip(SKIP_1) | instid1(SALU_CYCLE_2)
	s_fmamk_f32 s2, s27, 0x4f800000, s2
	s_wait_alu 0xfffe
	v_s_rcp_f32 s2, s2
	s_delay_alu instid0(TRANS32_DEP_1) | instskip(SKIP_1) | instid1(SALU_CYCLE_2)
	s_mul_f32 s2, s2, 0x5f7ffffc
	s_wait_alu 0xfffe
	s_mul_f32 s27, s2, 0x2f800000
	s_wait_alu 0xfffe
	s_delay_alu instid0(SALU_CYCLE_2) | instskip(SKIP_1) | instid1(SALU_CYCLE_2)
	s_trunc_f32 s27, s27
	s_wait_alu 0xfffe
	s_fmamk_f32 s2, s27, 0xcf800000, s2
	s_cvt_u32_f32 s29, s27
	s_wait_alu 0xfffe
	s_delay_alu instid0(SALU_CYCLE_1) | instskip(SKIP_1) | instid1(SALU_CYCLE_2)
	s_cvt_u32_f32 s28, s2
	s_wait_alu 0xfffe
	s_mul_u64 s[34:35], s[30:31], s[28:29]
	s_wait_alu 0xfffe
	s_mul_hi_u32 s37, s28, s35
	s_mul_i32 s36, s28, s35
	s_mul_hi_u32 s2, s28, s34
	s_mul_i32 s33, s29, s34
	s_wait_alu 0xfffe
	s_add_nc_u64 s[36:37], s[2:3], s[36:37]
	s_mul_hi_u32 s27, s29, s34
	s_mul_hi_u32 s38, s29, s35
	s_add_co_u32 s2, s36, s33
	s_wait_alu 0xfffe
	s_add_co_ci_u32 s2, s37, s27
	s_mul_i32 s34, s29, s35
	s_add_co_ci_u32 s35, s38, 0
	s_wait_alu 0xfffe
	s_add_nc_u64 s[34:35], s[2:3], s[34:35]
	s_wait_alu 0xfffe
	v_add_co_u32 v4, s2, s28, s34
	s_delay_alu instid0(VALU_DEP_1) | instskip(SKIP_1) | instid1(VALU_DEP_1)
	s_cmp_lg_u32 s2, 0
	s_add_co_ci_u32 s29, s29, s35
	v_readfirstlane_b32 s28, v4
	s_wait_alu 0xfffe
	s_delay_alu instid0(VALU_DEP_1)
	s_mul_u64 s[30:31], s[30:31], s[28:29]
	s_wait_alu 0xfffe
	s_mul_hi_u32 s35, s28, s31
	s_mul_i32 s34, s28, s31
	s_mul_hi_u32 s2, s28, s30
	s_mul_i32 s33, s29, s30
	s_wait_alu 0xfffe
	s_add_nc_u64 s[34:35], s[2:3], s[34:35]
	s_mul_hi_u32 s27, s29, s30
	s_mul_hi_u32 s28, s29, s31
	s_wait_alu 0xfffe
	s_add_co_u32 s2, s34, s33
	s_add_co_ci_u32 s2, s35, s27
	s_mul_i32 s30, s29, s31
	s_add_co_ci_u32 s31, s28, 0
	s_wait_alu 0xfffe
	s_add_nc_u64 s[30:31], s[2:3], s[30:31]
	s_wait_alu 0xfffe
	v_add_co_u32 v6, s2, v4, s30
	s_delay_alu instid0(VALU_DEP_1) | instskip(SKIP_1) | instid1(VALU_DEP_1)
	s_cmp_lg_u32 s2, 0
	s_add_co_ci_u32 s2, s29, s31
	v_mul_hi_u32 v10, v11, v6
	s_wait_alu 0xfffe
	v_mad_co_u64_u32 v[4:5], null, v11, s2, 0
	v_mad_co_u64_u32 v[13:14], null, v12, v6, 0
	;; [unrolled: 1-line block ×3, first 2 shown]
	s_delay_alu instid0(VALU_DEP_3) | instskip(SKIP_1) | instid1(VALU_DEP_4)
	v_add_co_u32 v4, vcc_lo, v10, v4
	s_wait_alu 0xfffd
	v_add_co_ci_u32_e32 v5, vcc_lo, 0, v5, vcc_lo
	s_delay_alu instid0(VALU_DEP_2) | instskip(SKIP_1) | instid1(VALU_DEP_2)
	v_add_co_u32 v4, vcc_lo, v4, v13
	s_wait_alu 0xfffd
	v_add_co_ci_u32_e32 v4, vcc_lo, v5, v14, vcc_lo
	s_wait_alu 0xfffd
	v_add_co_ci_u32_e32 v5, vcc_lo, 0, v16, vcc_lo
	s_delay_alu instid0(VALU_DEP_2) | instskip(SKIP_1) | instid1(VALU_DEP_2)
	v_add_co_u32 v10, vcc_lo, v4, v15
	s_wait_alu 0xfffd
	v_add_co_ci_u32_e32 v6, vcc_lo, 0, v5, vcc_lo
	s_delay_alu instid0(VALU_DEP_2) | instskip(SKIP_1) | instid1(VALU_DEP_3)
	v_mul_lo_u32 v13, s25, v10
	v_mad_co_u64_u32 v[4:5], null, s24, v10, 0
	v_mul_lo_u32 v14, s24, v6
	s_delay_alu instid0(VALU_DEP_2) | instskip(NEXT) | instid1(VALU_DEP_2)
	v_sub_co_u32 v4, vcc_lo, v11, v4
	v_add3_u32 v5, v5, v14, v13
	s_delay_alu instid0(VALU_DEP_1) | instskip(SKIP_1) | instid1(VALU_DEP_1)
	v_sub_nc_u32_e32 v13, v12, v5
	s_wait_alu 0xfffd
	v_subrev_co_ci_u32_e64 v13, s2, s25, v13, vcc_lo
	v_add_co_u32 v14, s2, v10, 2
	s_wait_alu 0xf1ff
	v_add_co_ci_u32_e64 v15, s2, 0, v6, s2
	v_sub_co_u32 v16, s2, v4, s24
	v_sub_co_ci_u32_e32 v5, vcc_lo, v12, v5, vcc_lo
	s_wait_alu 0xf1ff
	v_subrev_co_ci_u32_e64 v13, s2, 0, v13, s2
	s_delay_alu instid0(VALU_DEP_3) | instskip(NEXT) | instid1(VALU_DEP_3)
	v_cmp_le_u32_e32 vcc_lo, s24, v16
	v_cmp_eq_u32_e64 s2, s25, v5
	s_wait_alu 0xfffd
	v_cndmask_b32_e64 v16, 0, -1, vcc_lo
	v_cmp_le_u32_e32 vcc_lo, s25, v13
	s_wait_alu 0xfffd
	v_cndmask_b32_e64 v17, 0, -1, vcc_lo
	v_cmp_le_u32_e32 vcc_lo, s24, v4
	;; [unrolled: 3-line block ×3, first 2 shown]
	s_wait_alu 0xfffd
	v_cndmask_b32_e64 v18, 0, -1, vcc_lo
	v_cmp_eq_u32_e32 vcc_lo, s25, v13
	s_wait_alu 0xf1ff
	s_delay_alu instid0(VALU_DEP_2)
	v_cndmask_b32_e64 v4, v18, v4, s2
	s_wait_alu 0xfffd
	v_cndmask_b32_e32 v13, v17, v16, vcc_lo
	v_add_co_u32 v16, vcc_lo, v10, 1
	s_wait_alu 0xfffd
	v_add_co_ci_u32_e32 v17, vcc_lo, 0, v6, vcc_lo
	s_delay_alu instid0(VALU_DEP_3) | instskip(SKIP_1) | instid1(VALU_DEP_2)
	v_cmp_ne_u32_e32 vcc_lo, 0, v13
	s_wait_alu 0xfffd
	v_cndmask_b32_e32 v5, v17, v15, vcc_lo
	v_cndmask_b32_e32 v13, v16, v14, vcc_lo
	v_cmp_ne_u32_e32 vcc_lo, 0, v4
	s_wait_alu 0xfffd
	s_delay_alu instid0(VALU_DEP_3) | instskip(NEXT) | instid1(VALU_DEP_3)
	v_cndmask_b32_e32 v6, v6, v5, vcc_lo
	v_cndmask_b32_e32 v5, v10, v13, vcc_lo
.LBB0_4:                                ;   in Loop: Header=BB0_2 Depth=1
	s_wait_alu 0xfffe
	s_and_not1_saveexec_b32 s2, s26
	s_cbranch_execz .LBB0_6
; %bb.5:                                ;   in Loop: Header=BB0_2 Depth=1
	v_cvt_f32_u32_e32 v4, s24
	s_sub_co_i32 s26, 0, s24
	s_delay_alu instid0(VALU_DEP_1) | instskip(NEXT) | instid1(TRANS32_DEP_1)
	v_rcp_iflag_f32_e32 v4, v4
	v_mul_f32_e32 v4, 0x4f7ffffe, v4
	s_delay_alu instid0(VALU_DEP_1) | instskip(SKIP_1) | instid1(VALU_DEP_1)
	v_cvt_u32_f32_e32 v4, v4
	s_wait_alu 0xfffe
	v_mul_lo_u32 v5, s26, v4
	s_delay_alu instid0(VALU_DEP_1) | instskip(NEXT) | instid1(VALU_DEP_1)
	v_mul_hi_u32 v5, v4, v5
	v_add_nc_u32_e32 v4, v4, v5
	s_delay_alu instid0(VALU_DEP_1) | instskip(NEXT) | instid1(VALU_DEP_1)
	v_mul_hi_u32 v4, v11, v4
	v_mul_lo_u32 v5, v4, s24
	v_add_nc_u32_e32 v6, 1, v4
	s_delay_alu instid0(VALU_DEP_2) | instskip(NEXT) | instid1(VALU_DEP_1)
	v_sub_nc_u32_e32 v5, v11, v5
	v_subrev_nc_u32_e32 v10, s24, v5
	v_cmp_le_u32_e32 vcc_lo, s24, v5
	s_wait_alu 0xfffd
	s_delay_alu instid0(VALU_DEP_2) | instskip(SKIP_1) | instid1(VALU_DEP_2)
	v_cndmask_b32_e32 v5, v5, v10, vcc_lo
	v_cndmask_b32_e32 v4, v4, v6, vcc_lo
	v_cmp_le_u32_e32 vcc_lo, s24, v5
	s_delay_alu instid0(VALU_DEP_2) | instskip(SKIP_1) | instid1(VALU_DEP_1)
	v_add_nc_u32_e32 v6, 1, v4
	s_wait_alu 0xfffd
	v_dual_cndmask_b32 v5, v4, v6 :: v_dual_mov_b32 v6, v9
.LBB0_6:                                ;   in Loop: Header=BB0_2 Depth=1
	s_wait_alu 0xfffe
	s_or_b32 exec_lo, exec_lo, s2
	s_delay_alu instid0(VALU_DEP_1) | instskip(NEXT) | instid1(VALU_DEP_2)
	v_mul_lo_u32 v4, v6, s24
	v_mul_lo_u32 v10, v5, s25
	s_load_b64 s[26:27], s[18:19], 0x0
	v_mad_co_u64_u32 v[13:14], null, v5, s24, 0
	s_load_b64 s[24:25], s[16:17], 0x0
	s_add_nc_u64 s[20:21], s[20:21], 1
	s_add_nc_u64 s[16:17], s[16:17], 8
	s_wait_alu 0xfffe
	v_cmp_ge_u64_e64 s2, s[20:21], s[10:11]
	s_add_nc_u64 s[18:19], s[18:19], 8
	s_add_nc_u64 s[22:23], s[22:23], 8
	v_add3_u32 v4, v14, v10, v4
	v_sub_co_u32 v10, vcc_lo, v11, v13
	s_wait_alu 0xfffd
	s_delay_alu instid0(VALU_DEP_2) | instskip(SKIP_2) | instid1(VALU_DEP_1)
	v_sub_co_ci_u32_e32 v4, vcc_lo, v12, v4, vcc_lo
	s_and_b32 vcc_lo, exec_lo, s2
	s_wait_kmcnt 0x0
	v_mul_lo_u32 v11, s26, v4
	v_mul_lo_u32 v12, s27, v10
	v_mad_co_u64_u32 v[7:8], null, s26, v10, v[7:8]
	v_mul_lo_u32 v4, s24, v4
	v_mul_lo_u32 v13, s25, v10
	v_mad_co_u64_u32 v[1:2], null, s24, v10, v[1:2]
	s_delay_alu instid0(VALU_DEP_4) | instskip(NEXT) | instid1(VALU_DEP_2)
	v_add3_u32 v8, v12, v8, v11
	v_add3_u32 v2, v13, v2, v4
	s_wait_alu 0xfffe
	s_cbranch_vccnz .LBB0_8
; %bb.7:                                ;   in Loop: Header=BB0_2 Depth=1
	v_dual_mov_b32 v12, v6 :: v_dual_mov_b32 v11, v5
	s_branch .LBB0_2
.LBB0_8:
	s_load_b64 s[0:1], s[0:1], 0x28
	v_mul_hi_u32 v4, 0xcccccccd, v3
	s_lshl_b64 s[10:11], s[10:11], 3
	s_wait_alu 0xfffe
	s_add_nc_u64 s[2:3], s[14:15], s[10:11]
	s_delay_alu instid0(VALU_DEP_1) | instskip(NEXT) | instid1(VALU_DEP_1)
	v_lshrrev_b32_e32 v4, 2, v4
	v_lshl_add_u32 v9, v4, 2, v4
	v_mul_hi_u32 v4, 0xaaaaaab, v0
	s_delay_alu instid0(VALU_DEP_2) | instskip(SKIP_3) | instid1(VALU_DEP_1)
	v_sub_nc_u32_e32 v11, v3, v9
	s_wait_kmcnt 0x0
	v_cmp_gt_u64_e32 vcc_lo, s[0:1], v[5:6]
	v_cmp_le_u64_e64 s0, s[0:1], v[5:6]
                                        ; implicit-def: $vgpr3
                                        ; implicit-def: $vgpr9_vgpr10
	s_and_saveexec_b32 s1, s0
	s_wait_alu 0xfffe
	s_xor_b32 s0, exec_lo, s1
; %bb.9:
	v_mul_u32_u24_e32 v3, 24, v4
	v_mov_b32_e32 v4, 0
                                        ; implicit-def: $vgpr7_vgpr8
	s_delay_alu instid0(VALU_DEP_2) | instskip(NEXT) | instid1(VALU_DEP_2)
	v_sub_nc_u32_e32 v3, v0, v3
	v_mov_b32_e32 v10, v4
                                        ; implicit-def: $vgpr0
	s_delay_alu instid0(VALU_DEP_2)
	v_mov_b32_e32 v9, v3
                                        ; implicit-def: $vgpr4
; %bb.10:
	s_wait_alu 0xfffe
	s_or_saveexec_b32 s1, s0
	s_load_b64 s[2:3], s[2:3], 0x0
	v_mul_u32_u24_e32 v11, 0x121, v11
	s_delay_alu instid0(VALU_DEP_1)
	v_lshlrev_b32_e32 v14, 3, v11
	s_xor_b32 exec_lo, exec_lo, s1
	s_cbranch_execz .LBB0_14
; %bb.11:
	s_add_nc_u64 s[10:11], s[12:13], s[10:11]
	v_lshlrev_b64_e32 v[7:8], 3, v[7:8]
	s_load_b64 s[10:11], s[10:11], 0x0
	s_wait_kmcnt 0x0
	v_mul_lo_u32 v3, s11, v5
	v_mul_lo_u32 v12, s10, v6
	v_mad_co_u64_u32 v[9:10], null, s10, v5, 0
	s_delay_alu instid0(VALU_DEP_1) | instskip(SKIP_1) | instid1(VALU_DEP_2)
	v_add3_u32 v10, v10, v12, v3
	v_mul_u32_u24_e32 v3, 24, v4
	v_lshlrev_b64_e32 v[9:10], 3, v[9:10]
	s_delay_alu instid0(VALU_DEP_2) | instskip(NEXT) | instid1(VALU_DEP_1)
	v_sub_nc_u32_e32 v3, v0, v3
	v_lshlrev_b32_e32 v37, 3, v3
	s_delay_alu instid0(VALU_DEP_3) | instskip(SKIP_1) | instid1(VALU_DEP_4)
	v_add_co_u32 v0, s0, s4, v9
	s_wait_alu 0xf1ff
	v_add_co_ci_u32_e64 v4, s0, s5, v10, s0
	s_mov_b32 s4, exec_lo
	s_delay_alu instid0(VALU_DEP_2) | instskip(SKIP_1) | instid1(VALU_DEP_2)
	v_add_co_u32 v7, s0, v0, v7
	s_wait_alu 0xf1ff
	v_add_co_ci_u32_e64 v8, s0, v4, v8, s0
	v_mov_b32_e32 v4, 0
	s_delay_alu instid0(VALU_DEP_3) | instskip(SKIP_1) | instid1(VALU_DEP_3)
	v_add_co_u32 v9, s0, v7, v37
	s_wait_alu 0xf1ff
	v_add_co_ci_u32_e64 v10, s0, 0, v8, s0
	s_clause 0xb
	global_load_b64 v[12:13], v[9:10], off
	global_load_b64 v[15:16], v[9:10], off offset:192
	global_load_b64 v[17:18], v[9:10], off offset:384
	;; [unrolled: 1-line block ×11, first 2 shown]
	v_add3_u32 v0, 0, v14, v37
	v_dual_mov_b32 v10, v4 :: v_dual_mov_b32 v9, v3
	s_delay_alu instid0(VALU_DEP_2)
	v_add_nc_u32_e32 v4, 0x400, v0
	s_wait_loadcnt 0xa
	ds_store_2addr_b64 v0, v[12:13], v[15:16] offset1:24
	s_wait_loadcnt 0x8
	ds_store_2addr_b64 v0, v[17:18], v[19:20] offset0:48 offset1:72
	s_wait_loadcnt 0x6
	ds_store_2addr_b64 v0, v[21:22], v[23:24] offset0:96 offset1:120
	;; [unrolled: 2-line block ×5, first 2 shown]
	v_cmpx_eq_u32_e32 23, v3
	s_cbranch_execz .LBB0_13
; %bb.12:
	global_load_b64 v[7:8], v[7:8], off offset:2304
	v_mov_b32_e32 v9, 23
	v_dual_mov_b32 v10, 0 :: v_dual_mov_b32 v3, 23
	s_wait_loadcnt 0x0
	ds_store_b64 v0, v[7:8] offset:2120
.LBB0_13:
	s_wait_alu 0xfffe
	s_or_b32 exec_lo, exec_lo, s4
.LBB0_14:
	s_delay_alu instid0(SALU_CYCLE_1)
	s_or_b32 exec_lo, exec_lo, s1
	v_lshl_add_u32 v0, v11, 3, 0
	v_lshlrev_b32_e32 v16, 3, v3
	global_wb scope:SCOPE_SE
	s_wait_dscnt 0x0
	s_wait_kmcnt 0x0
	s_barrier_signal -1
	s_barrier_wait -1
	global_inv scope:SCOPE_SE
	v_add_nc_u32_e32 v13, v0, v16
	v_sub_nc_u32_e32 v15, v0, v16
	v_lshlrev_b64_e32 v[7:8], 3, v[9:10]
	s_mov_b32 s1, exec_lo
	ds_load_b32 v4, v13
	ds_load_b32 v17, v15 offset:2304
	s_wait_dscnt 0x0
	v_dual_add_f32 v11, v17, v4 :: v_dual_sub_f32 v12, v4, v17
	v_cmpx_ne_u32_e32 0, v3
	s_wait_alu 0xfffe
	s_xor_b32 s1, exec_lo, s1
	s_cbranch_execz .LBB0_16
; %bb.15:
	v_add_co_u32 v9, s0, s8, v7
	s_wait_alu 0xf1ff
	v_add_co_ci_u32_e64 v10, s0, s9, v8, s0
	global_load_b64 v[9:10], v[9:10], off offset:2256
	ds_load_b32 v11, v15 offset:2308
	ds_load_b32 v12, v13 offset:4
	v_add_f32_e32 v18, v17, v4
	s_wait_dscnt 0x0
	v_dual_sub_f32 v4, v4, v17 :: v_dual_add_f32 v19, v11, v12
	v_sub_f32_e32 v11, v12, v11
	s_wait_loadcnt 0x0
	s_delay_alu instid0(VALU_DEP_2) | instskip(SKIP_1) | instid1(VALU_DEP_3)
	v_fma_f32 v20, v4, v10, v18
	v_fma_f32 v17, -v4, v10, v18
	v_fma_f32 v18, v19, v10, -v11
	v_fma_f32 v12, v19, v10, v11
	s_delay_alu instid0(VALU_DEP_4) | instskip(NEXT) | instid1(VALU_DEP_3)
	v_fma_f32 v11, -v9, v19, v20
	v_dual_fmac_f32 v17, v9, v19 :: v_dual_fmac_f32 v18, v4, v9
	s_delay_alu instid0(VALU_DEP_3)
	v_fmac_f32_e32 v12, v4, v9
	ds_store_b64 v15, v[17:18] offset:2304
.LBB0_16:
	s_wait_alu 0xfffe
	s_and_not1_saveexec_b32 s0, s1
	s_cbranch_execz .LBB0_18
; %bb.17:
	ds_load_b64 v[9:10], v0 offset:1152
	s_wait_dscnt 0x0
	v_dual_add_f32 v9, v9, v9 :: v_dual_mul_f32 v10, -2.0, v10
	ds_store_b64 v0, v[9:10] offset:1152
.LBB0_18:
	s_wait_alu 0xfffe
	s_or_b32 exec_lo, exec_lo, s0
	v_mov_b32_e32 v4, 0
	s_add_nc_u64 s[0:1], s[8:9], 0x8d0
	v_add_nc_u32_e32 v39, 24, v3
	s_delay_alu instid0(VALU_DEP_2) | instskip(SKIP_1) | instid1(VALU_DEP_1)
	v_lshlrev_b64_e32 v[9:10], 3, v[3:4]
	s_wait_alu 0xfffe
	v_add_co_u32 v17, s0, s0, v9
	s_wait_alu 0xf1ff
	s_delay_alu instid0(VALU_DEP_2)
	v_add_co_ci_u32_e64 v18, s0, s1, v10, s0
	v_cmp_gt_u32_e64 s0, 12, v3
	s_clause 0x4
	global_load_b64 v[19:20], v[17:18], off offset:192
	global_load_b64 v[21:22], v[17:18], off offset:384
	;; [unrolled: 1-line block ×5, first 2 shown]
	ds_store_b64 v13, v[11:12]
	ds_load_b64 v[11:12], v13 offset:192
	ds_load_b64 v[27:28], v15 offset:2112
	s_wait_dscnt 0x0
	v_dual_add_f32 v29, v11, v27 :: v_dual_add_f32 v30, v28, v12
	v_sub_f32_e32 v31, v11, v27
	v_sub_f32_e32 v11, v12, v28
	s_wait_loadcnt 0x4
	s_delay_alu instid0(VALU_DEP_1) | instskip(NEXT) | instid1(VALU_DEP_3)
	v_fma_f32 v12, v30, v20, v11
	v_fma_f32 v32, v31, v20, v29
	v_fma_f32 v27, -v31, v20, v29
	s_delay_alu instid0(VALU_DEP_3) | instskip(SKIP_1) | instid1(VALU_DEP_4)
	v_fmac_f32_e32 v12, v31, v19
	v_fma_f32 v28, v30, v20, -v11
	v_fma_f32 v11, -v19, v30, v32
	s_delay_alu instid0(VALU_DEP_4) | instskip(NEXT) | instid1(VALU_DEP_3)
	v_fmac_f32_e32 v27, v19, v30
	v_fmac_f32_e32 v28, v31, v19
	ds_store_b64 v13, v[11:12] offset:192
	ds_store_b64 v15, v[27:28] offset:2112
	ds_load_b64 v[11:12], v13 offset:384
	ds_load_b64 v[19:20], v15 offset:1920
	s_wait_dscnt 0x0
	v_dual_add_f32 v28, v20, v12 :: v_dual_sub_f32 v29, v11, v19
	v_add_f32_e32 v27, v11, v19
	v_sub_f32_e32 v11, v12, v20
	s_wait_loadcnt 0x3
	s_delay_alu instid0(VALU_DEP_1) | instskip(SKIP_1) | instid1(VALU_DEP_2)
	v_fma_f32 v12, v28, v22, v11
	v_fma_f32 v20, v28, v22, -v11
	v_fmac_f32_e32 v12, v29, v21
	v_fma_f32 v30, v29, v22, v27
	v_fma_f32 v19, -v29, v22, v27
	s_delay_alu instid0(VALU_DEP_4) | instskip(NEXT) | instid1(VALU_DEP_3)
	v_fmac_f32_e32 v20, v29, v21
	v_fma_f32 v11, -v21, v28, v30
	s_delay_alu instid0(VALU_DEP_3)
	v_fmac_f32_e32 v19, v21, v28
	ds_store_b64 v13, v[11:12] offset:384
	ds_store_b64 v15, v[19:20] offset:1920
	ds_load_b64 v[11:12], v13 offset:576
	ds_load_b64 v[19:20], v15 offset:1728
	s_wait_dscnt 0x0
	v_dual_add_f32 v21, v11, v19 :: v_dual_add_f32 v22, v20, v12
	v_sub_f32_e32 v27, v11, v19
	v_sub_f32_e32 v11, v12, v20
	s_wait_loadcnt 0x2
	s_delay_alu instid0(VALU_DEP_2) | instskip(NEXT) | instid1(VALU_DEP_2)
	v_fma_f32 v28, v27, v24, v21
	v_fma_f32 v20, v22, v24, -v11
	v_fma_f32 v19, -v27, v24, v21
	s_delay_alu instid0(VALU_DEP_2) | instskip(SKIP_2) | instid1(VALU_DEP_4)
	v_fmac_f32_e32 v20, v27, v23
	v_fma_f32 v12, v22, v24, v11
	v_fma_f32 v11, -v23, v22, v28
	v_fmac_f32_e32 v19, v23, v22
	s_delay_alu instid0(VALU_DEP_3)
	v_fmac_f32_e32 v12, v27, v23
	ds_store_b64 v13, v[11:12] offset:576
	ds_store_b64 v15, v[19:20] offset:1728
	ds_load_b64 v[11:12], v13 offset:768
	ds_load_b64 v[19:20], v15 offset:1536
	s_wait_dscnt 0x0
	v_dual_add_f32 v21, v11, v19 :: v_dual_add_f32 v22, v20, v12
	v_sub_f32_e32 v23, v11, v19
	v_sub_f32_e32 v11, v12, v20
	s_wait_loadcnt 0x1
	s_delay_alu instid0(VALU_DEP_2) | instskip(NEXT) | instid1(VALU_DEP_2)
	v_fma_f32 v24, v23, v26, v21
	v_fma_f32 v12, v22, v26, v11
	v_fma_f32 v19, -v23, v26, v21
	s_delay_alu instid0(VALU_DEP_2) | instskip(SKIP_2) | instid1(VALU_DEP_4)
	v_dual_fmac_f32 v12, v23, v25 :: v_dual_and_b32 v21, 0xff, v3
	v_fma_f32 v20, v22, v26, -v11
	v_fma_f32 v11, -v25, v22, v24
	v_fmac_f32_e32 v19, v25, v22
	s_delay_alu instid0(VALU_DEP_4)
	v_mul_lo_u16 v21, 0xab, v21
	v_and_b32_e32 v22, 0xff, v39
	v_fmac_f32_e32 v20, v23, v25
	ds_store_b64 v13, v[11:12] offset:768
	ds_store_b64 v15, v[19:20] offset:1536
	ds_load_b64 v[11:12], v13 offset:960
	ds_load_b64 v[19:20], v15 offset:1344
	v_lshrrev_b16 v40, 10, v21
	v_mul_lo_u16 v22, 0xab, v22
	s_delay_alu instid0(VALU_DEP_2) | instskip(NEXT) | instid1(VALU_DEP_2)
	v_mul_lo_u16 v24, v40, 6
	v_lshrrev_b16 v41, 10, v22
	s_wait_dscnt 0x0
	v_add_f32_e32 v21, v11, v19
	v_add_f32_e32 v23, v20, v12
	v_dual_sub_f32 v11, v11, v19 :: v_dual_sub_f32 v12, v12, v20
	s_wait_loadcnt 0x0
	s_delay_alu instid0(VALU_DEP_1) | instskip(NEXT) | instid1(VALU_DEP_2)
	v_fma_f32 v25, v11, v18, v21
	v_fma_f32 v19, v23, v18, v12
	v_fma_f32 v20, -v11, v18, v21
	v_fma_f32 v21, v23, v18, -v12
	v_sub_nc_u16 v12, v3, v24
	v_fma_f32 v18, -v17, v23, v25
	s_delay_alu instid0(VALU_DEP_4) | instskip(NEXT) | instid1(VALU_DEP_4)
	v_dual_fmac_f32 v19, v11, v17 :: v_dual_fmac_f32 v20, v17, v23
	v_fmac_f32_e32 v21, v11, v17
	v_add3_u32 v11, 0, v16, v14
	ds_store_b64 v13, v[18:19] offset:960
	ds_store_b64 v15, v[20:21] offset:1344
	global_wb scope:SCOPE_SE
	s_wait_dscnt 0x0
	s_barrier_signal -1
	s_barrier_wait -1
	global_inv scope:SCOPE_SE
	global_wb scope:SCOPE_SE
	s_barrier_signal -1
	s_barrier_wait -1
	global_inv scope:SCOPE_SE
	ds_load_2addr_b64 v[15:18], v11 offset0:72 offset1:96
	ds_load_b64 v[35:36], v13
	ds_load_2addr_b64 v[19:22], v11 offset0:168 offset1:192
	v_mul_lo_u16 v23, v41, 6
	s_wait_dscnt 0x1
	v_dual_add_f32 v44, v35, v17 :: v_dual_and_b32 v57, 0xff, v12
	s_wait_dscnt 0x0
	v_sub_f32_e32 v46, v18, v22
	v_sub_nc_u16 v12, v39, v23
	ds_load_2addr_b64 v[23:26], v11 offset0:24 offset1:48
	ds_load_2addr_b64 v[27:30], v11 offset0:120 offset1:144
	;; [unrolled: 1-line block ×3, first 2 shown]
	v_add_f32_e32 v45, v17, v21
	v_dual_add_f32 v47, v36, v18 :: v_dual_add_f32 v56, v15, v19
	v_dual_add_f32 v18, v18, v22 :: v_dual_sub_f32 v17, v17, v21
	v_and_b32_e32 v58, 0xff, v12
	v_mad_u32_u24 v12, v3, 40, v11
	s_delay_alu instid0(VALU_DEP_3) | instskip(NEXT) | instid1(VALU_DEP_3)
	v_fmac_f32_e32 v36, -0.5, v18
	v_mul_u32_u24_e32 v43, 5, v58
	s_wait_dscnt 0x1
	v_add_f32_e32 v51, v26, v30
	s_wait_dscnt 0x0
	v_sub_f32_e32 v50, v30, v34
	v_add_f32_e32 v30, v30, v34
	v_mul_u32_u24_e32 v37, 5, v57
	v_add_f32_e32 v48, v25, v29
	v_dual_add_f32 v49, v29, v33 :: v_dual_add_f32 v52, v23, v27
	v_sub_f32_e32 v54, v28, v32
	s_delay_alu instid0(VALU_DEP_4)
	v_lshlrev_b32_e32 v42, 3, v37
	ds_load_b64 v[37:38], v11 offset:2112
	v_sub_f32_e32 v29, v29, v33
	v_add_f32_e32 v53, v27, v31
	v_add_f32_e32 v55, v24, v28
	;; [unrolled: 1-line block ×3, first 2 shown]
	v_fma_f32 v35, -0.5, v45, v35
	v_add_f32_e32 v61, v16, v20
	v_sub_f32_e32 v27, v27, v31
	v_fma_f32 v30, -0.5, v30, v26
	v_add_f32_e32 v26, v52, v31
	v_fmac_f32_e32 v24, -0.5, v28
	global_wb scope:SCOPE_SE
	s_wait_dscnt 0x0
	s_barrier_signal -1
	s_barrier_wait -1
	global_inv scope:SCOPE_SE
	v_dual_add_f32 v59, v19, v37 :: v_dual_sub_f32 v60, v20, v38
	v_add_f32_e32 v20, v20, v38
	v_sub_f32_e32 v62, v19, v37
	v_add_f32_e32 v19, v44, v21
	v_dual_add_f32 v21, v47, v22 :: v_dual_add_f32 v28, v56, v37
	v_add_f32_e32 v22, v48, v33
	v_fma_f32 v33, -0.5, v49, v25
	v_dual_add_f32 v25, v51, v34 :: v_dual_fmac_f32 v16, -0.5, v20
	v_fma_f32 v15, -0.5, v59, v15
	v_fma_f32 v23, -0.5, v53, v23
	v_dual_fmamk_f32 v34, v46, 0x3f5db3d7, v35 :: v_dual_add_f32 v31, v55, v32
	v_add_f32_e32 v32, v61, v38
	v_dual_fmac_f32 v35, 0xbf5db3d7, v46 :: v_dual_fmamk_f32 v44, v29, 0xbf5db3d7, v30
	v_fmamk_f32 v38, v50, 0x3f5db3d7, v33
	v_dual_fmac_f32 v33, 0xbf5db3d7, v50 :: v_dual_add_f32 v18, v21, v25
	v_dual_fmac_f32 v30, 0x3f5db3d7, v29 :: v_dual_fmamk_f32 v45, v54, 0x3f5db3d7, v23
	v_fmamk_f32 v46, v27, 0xbf5db3d7, v24
	v_dual_fmac_f32 v24, 0x3f5db3d7, v27 :: v_dual_fmamk_f32 v27, v60, 0x3f5db3d7, v15
	v_fmamk_f32 v29, v62, 0xbf5db3d7, v16
	v_fmac_f32_e32 v15, 0xbf5db3d7, v60
	v_fmac_f32_e32 v16, 0x3f5db3d7, v62
	v_fmamk_f32 v37, v17, 0xbf5db3d7, v36
	v_dual_fmac_f32 v36, 0x3f5db3d7, v17 :: v_dual_add_f32 v17, v19, v22
	v_dual_sub_f32 v19, v19, v22 :: v_dual_sub_f32 v20, v21, v25
	v_fmac_f32_e32 v23, 0xbf5db3d7, v54
	v_add_f32_e32 v21, v26, v28
	v_add_f32_e32 v22, v31, v32
	v_sub_f32_e32 v25, v26, v28
	v_sub_f32_e32 v26, v31, v32
	v_dual_mul_f32 v32, -0.5, v33 :: v_dual_mul_f32 v31, 0x3f5db3d7, v44
	v_mul_f32_e32 v48, -0.5, v30
	v_dual_mul_f32 v47, 0xbf5db3d7, v38 :: v_dual_mul_f32 v50, -0.5, v15
	v_dual_mul_f32 v49, 0x3f5db3d7, v29 :: v_dual_mul_f32 v52, -0.5, v16
	s_delay_alu instid0(VALU_DEP_3) | instskip(NEXT) | instid1(VALU_DEP_3)
	v_dual_mul_f32 v51, 0xbf5db3d7, v27 :: v_dual_fmac_f32 v48, 0xbf5db3d7, v33
	v_dual_fmac_f32 v31, 0.5, v38 :: v_dual_fmac_f32 v50, 0x3f5db3d7, v16
	s_delay_alu instid0(VALU_DEP_4) | instskip(NEXT) | instid1(VALU_DEP_3)
	v_dual_fmac_f32 v32, 0x3f5db3d7, v30 :: v_dual_fmac_f32 v47, 0.5, v44
	v_dual_fmac_f32 v49, 0.5, v27 :: v_dual_add_f32 v28, v36, v48
	s_delay_alu instid0(VALU_DEP_4) | instskip(NEXT) | instid1(VALU_DEP_4)
	v_dual_fmac_f32 v51, 0.5, v29 :: v_dual_fmac_f32 v52, 0xbf5db3d7, v15
	v_add_f32_e32 v15, v34, v31
	s_delay_alu instid0(VALU_DEP_4)
	v_dual_add_f32 v27, v35, v32 :: v_dual_add_f32 v16, v37, v47
	v_sub_f32_e32 v29, v34, v31
	v_dual_sub_f32 v31, v35, v32 :: v_dual_sub_f32 v30, v37, v47
	v_dual_sub_f32 v32, v36, v48 :: v_dual_add_f32 v33, v45, v49
	v_dual_add_f32 v34, v46, v51 :: v_dual_add_f32 v35, v23, v50
	v_sub_f32_e32 v38, v46, v51
	v_dual_add_f32 v36, v24, v52 :: v_dual_sub_f32 v37, v45, v49
	v_dual_sub_f32 v24, v24, v52 :: v_dual_sub_f32 v23, v23, v50
	ds_store_2addr_b64 v12, v[17:18], v[15:16] offset1:1
	ds_store_2addr_b64 v12, v[27:28], v[19:20] offset0:2 offset1:3
	ds_store_2addr_b64 v12, v[29:30], v[31:32] offset0:4 offset1:5
	;; [unrolled: 1-line block ×5, first 2 shown]
	v_add_nc_u32_e32 v32, -12, v3
	global_wb scope:SCOPE_SE
	s_wait_dscnt 0x0
	s_barrier_signal -1
	s_barrier_wait -1
	global_inv scope:SCOPE_SE
	s_clause 0x1
	global_load_b128 v[15:18], v42, s[8:9]
	global_load_b128 v[19:22], v42, s[8:9] offset:16
	v_dual_mov_b32 v56, v4 :: v_dual_lshlrev_b32 v31, 3, v43
	s_clause 0x3
	global_load_b64 v[51:52], v42, s[8:9] offset:32
	global_load_b128 v[23:26], v31, s[8:9]
	global_load_b128 v[27:30], v31, s[8:9] offset:16
	global_load_b64 v[53:54], v31, s[8:9] offset:32
	v_mad_i32_i24 v12, 0xffffffd8, v3, v12
	v_mul_u32_u24_e32 v31, 3, v3
	s_wait_alu 0xf1ff
	v_cndmask_b32_e64 v63, v32, v39, s0
	v_and_b32_e32 v47, 0xffff, v41
	ds_load_2addr_b64 v[35:38], v12 offset0:72 offset1:96
	v_and_b32_e32 v43, 0xffff, v40
	v_lshlrev_b32_e32 v62, 3, v31
	ds_load_2addr_b64 v[31:34], v12 offset0:24 offset1:48
	ds_load_2addr_b64 v[39:42], v11 offset0:144 offset1:168
	v_add_nc_u32_e32 v61, 0x400, v11
	v_mad_u32_u24 v64, 0x120, v43, 0
	ds_load_2addr_b64 v[43:46], v11 offset0:192 offset1:216
	v_lshlrev_b32_e32 v66, 3, v57
	v_lshlrev_b32_e32 v67, 3, v58
	v_mul_i32_i24_e32 v55, 3, v63
	s_delay_alu instid0(VALU_DEP_1)
	v_lshlrev_b64_e32 v[55:56], 3, v[55:56]
	s_wait_loadcnt_dscnt 0x401
	v_mul_f32_e32 v68, v20, v40
	v_mad_u32_u24 v65, 0x120, v47, 0
	s_wait_dscnt 0x0
	v_mul_f32_e32 v69, v22, v44
	v_add3_u32 v64, v64, v66, v14
	v_mul_f32_e32 v66, v16, v34
	ds_load_2addr_b64 v[47:50], v61 offset0:112 offset1:136
	ds_load_b64 v[57:58], v13
	ds_load_b64 v[59:60], v12 offset:960
	v_add3_u32 v65, v65, v67, v14
	v_dual_mul_f32 v67, v16, v33 :: v_dual_mul_f32 v16, v18, v38
	v_mul_f32_e32 v18, v18, v37
	s_wait_loadcnt 0x1
	v_dual_mul_f32 v20, v20, v39 :: v_dual_mul_f32 v73, v42, v28
	s_delay_alu instid0(VALU_DEP_3) | instskip(SKIP_3) | instid1(VALU_DEP_4)
	v_dual_mul_f32 v28, v41, v28 :: v_dual_fmac_f32 v67, v15, v34
	v_dual_mul_f32 v22, v22, v43 :: v_dual_mul_f32 v71, v36, v24
	v_fma_f32 v33, v15, v33, -v66
	v_fma_f32 v15, v17, v37, -v16
	v_fmac_f32_e32 v28, v42, v27
	v_fmac_f32_e32 v18, v17, v38
	v_fma_f32 v17, v21, v43, -v69
	v_mul_f32_e32 v24, v35, v24
	v_mul_f32_e32 v74, v46, v30
	v_fma_f32 v16, v19, v39, -v68
	s_wait_loadcnt_dscnt 0x2
	v_dual_mul_f32 v70, v48, v52 :: v_dual_mul_f32 v75, v50, v54
	s_wait_dscnt 0x0
	v_mul_f32_e32 v72, v60, v26
	v_fmac_f32_e32 v22, v21, v44
	v_fma_f32 v34, v35, v23, -v71
	v_add_f32_e32 v35, v15, v17
	v_add_f32_e32 v37, v58, v18
	v_fma_f32 v21, v59, v25, -v72
	v_fmac_f32_e32 v20, v19, v40
	v_fma_f32 v19, v47, v51, -v70
	v_mul_f32_e32 v26, v59, v26
	v_fmac_f32_e32 v24, v36, v23
	v_fma_f32 v23, v41, v27, -v73
	v_fma_f32 v27, v49, v53, -v75
	v_add_f32_e32 v39, v16, v19
	v_fmac_f32_e32 v26, v60, v25
	v_fma_f32 v25, v45, v29, -v74
	v_mul_f32_e32 v52, v47, v52
	v_dual_mul_f32 v54, v49, v54 :: v_dual_add_f32 v47, v23, v27
	v_add_f32_e32 v42, v31, v21
	s_delay_alu instid0(VALU_DEP_4) | instskip(SKIP_4) | instid1(VALU_DEP_4)
	v_add_f32_e32 v43, v21, v25
	v_dual_mul_f32 v30, v45, v30 :: v_dual_add_f32 v41, v67, v20
	v_add_f32_e32 v38, v33, v16
	v_sub_f32_e32 v21, v21, v25
	v_add_f32_e32 v25, v42, v25
	v_dual_fmac_f32 v30, v46, v29 :: v_dual_fmac_f32 v33, -0.5, v39
	v_add_f32_e32 v29, v57, v15
	v_dual_fmac_f32 v52, v48, v51 :: v_dual_sub_f32 v15, v15, v17
	v_fma_f32 v31, -0.5, v43, v31
	global_wb scope:SCOPE_SE
	v_dual_add_f32 v17, v29, v17 :: v_dual_add_f32 v46, v34, v23
	v_add_f32_e32 v49, v24, v28
	v_sub_f32_e32 v23, v23, v27
	v_add_f32_e32 v45, v32, v26
	v_sub_f32_e32 v36, v18, v22
	v_fma_f32 v29, -0.5, v35, v57
	v_add_f32_e32 v18, v18, v22
	v_sub_f32_e32 v40, v20, v52
	v_add_f32_e32 v22, v37, v22
	s_barrier_signal -1
	s_barrier_wait -1
	v_fmac_f32_e32 v58, -0.5, v18
	v_add_f32_e32 v18, v38, v19
	v_add_f32_e32 v20, v20, v52
	global_inv scope:SCOPE_SE
	v_fmamk_f32 v35, v15, 0xbf5db3d7, v58
	v_dual_fmac_f32 v58, 0x3f5db3d7, v15 :: v_dual_add_f32 v15, v17, v18
	v_dual_fmac_f32 v54, v50, v53 :: v_dual_fmac_f32 v67, -0.5, v20
	v_sub_f32_e32 v44, v26, v30
	v_add_f32_e32 v26, v26, v30
	v_sub_f32_e32 v17, v17, v18
	s_delay_alu instid0(VALU_DEP_2)
	v_fmac_f32_e32 v32, -0.5, v26
	v_dual_add_f32 v26, v46, v27 :: v_dual_add_f32 v27, v49, v54
	v_dual_sub_f32 v16, v16, v19 :: v_dual_add_f32 v19, v41, v52
	v_sub_f32_e32 v48, v28, v54
	v_add_f32_e32 v28, v28, v54
	v_fmac_f32_e32 v34, -0.5, v47
	s_delay_alu instid0(VALU_DEP_2)
	v_fmac_f32_e32 v24, -0.5, v28
	v_fmamk_f32 v28, v36, 0x3f5db3d7, v29
	v_fmac_f32_e32 v29, 0xbf5db3d7, v36
	v_fmamk_f32 v36, v40, 0x3f5db3d7, v33
	v_fmac_f32_e32 v33, 0xbf5db3d7, v40
	;; [unrolled: 2-line block ×3, first 2 shown]
	v_fmamk_f32 v38, v44, 0x3f5db3d7, v31
	v_dual_fmac_f32 v31, 0xbf5db3d7, v44 :: v_dual_sub_f32 v18, v22, v19
	s_delay_alu instid0(VALU_DEP_3) | instskip(NEXT) | instid1(VALU_DEP_1)
	v_mul_f32_e32 v43, -0.5, v67
	v_fmac_f32_e32 v43, 0xbf5db3d7, v33
	v_fmamk_f32 v41, v23, 0xbf5db3d7, v24
	v_fmac_f32_e32 v24, 0x3f5db3d7, v23
	v_add_f32_e32 v30, v45, v30
	s_delay_alu instid0(VALU_DEP_2) | instskip(SKIP_1) | instid1(VALU_DEP_3)
	v_dual_mul_f32 v44, 0x3f5db3d7, v41 :: v_dual_mul_f32 v47, -0.5, v24
	v_add_f32_e32 v16, v22, v19
	v_add_f32_e32 v20, v30, v27
	v_dual_sub_f32 v22, v30, v27 :: v_dual_mul_f32 v27, 0x3f5db3d7, v37
	s_delay_alu instid0(VALU_DEP_1) | instskip(SKIP_3) | instid1(VALU_DEP_4)
	v_dual_mul_f32 v30, -0.5, v33 :: v_dual_fmac_f32 v27, 0.5, v36
	v_fmamk_f32 v39, v21, 0xbf5db3d7, v32
	v_fmamk_f32 v40, v48, 0x3f5db3d7, v34
	v_fmac_f32_e32 v34, 0xbf5db3d7, v48
	v_fmac_f32_e32 v30, 0x3f5db3d7, v67
	;; [unrolled: 1-line block ×3, first 2 shown]
	s_delay_alu instid0(VALU_DEP_3)
	v_dual_fmac_f32 v44, 0.5, v40 :: v_dual_mul_f32 v45, -0.5, v34
	v_add_f32_e32 v19, v25, v26
	v_sub_f32_e32 v21, v25, v26
	v_add_f32_e32 v25, v29, v30
	v_dual_sub_f32 v29, v29, v30 :: v_dual_mul_f32 v42, 0xbf5db3d7, v36
	v_fmac_f32_e32 v45, 0x3f5db3d7, v24
	v_add_f32_e32 v23, v28, v27
	v_sub_f32_e32 v27, v28, v27
	s_delay_alu instid0(VALU_DEP_4) | instskip(SKIP_2) | instid1(VALU_DEP_3)
	v_dual_fmac_f32 v47, 0xbf5db3d7, v34 :: v_dual_fmac_f32 v42, 0.5, v37
	v_add_f32_e32 v26, v58, v43
	v_sub_f32_e32 v30, v58, v43
	v_add_f32_e32 v36, v32, v47
	s_delay_alu instid0(VALU_DEP_4)
	v_add_f32_e32 v24, v35, v42
	v_sub_f32_e32 v28, v35, v42
	v_add_f32_e32 v35, v31, v45
	v_sub_f32_e32 v31, v31, v45
	v_add_f32_e32 v33, v38, v44
	v_mul_f32_e32 v46, 0xbf5db3d7, v40
	v_dual_sub_f32 v37, v38, v44 :: v_dual_sub_f32 v32, v32, v47
	s_delay_alu instid0(VALU_DEP_2) | instskip(NEXT) | instid1(VALU_DEP_1)
	v_fmac_f32_e32 v46, 0.5, v41
	v_add_f32_e32 v34, v39, v46
	v_sub_f32_e32 v38, v39, v46
	ds_store_2addr_b64 v64, v[15:16], v[23:24] offset1:6
	ds_store_2addr_b64 v64, v[25:26], v[17:18] offset0:12 offset1:18
	ds_store_2addr_b64 v64, v[27:28], v[29:30] offset0:24 offset1:30
	ds_store_2addr_b64 v65, v[19:20], v[33:34] offset1:6
	ds_store_2addr_b64 v65, v[35:36], v[21:22] offset0:12 offset1:18
	ds_store_2addr_b64 v65, v[37:38], v[31:32] offset0:24 offset1:30
	v_add_co_u32 v23, s0, s8, v55
	s_wait_alu 0xf1ff
	v_add_co_ci_u32_e64 v24, s0, s9, v56, s0
	global_wb scope:SCOPE_SE
	s_wait_dscnt 0x0
	s_barrier_signal -1
	s_barrier_wait -1
	global_inv scope:SCOPE_SE
	s_clause 0x5
	global_load_b128 v[15:18], v62, s[8:9] offset:240
	global_load_b64 v[43:44], v62, s[8:9] offset:256
	global_load_b128 v[19:22], v[23:24], off offset:240
	global_load_b64 v[45:46], v[23:24], off offset:256
	global_load_b128 v[23:26], v62, s[8:9] offset:528
	global_load_b64 v[47:48], v62, s[8:9] offset:544
	v_cmp_lt_u32_e64 s0, 11, v3
	ds_load_2addr_b64 v[27:30], v12 offset0:72 offset1:96
	ds_load_2addr_b64 v[31:34], v11 offset0:144 offset1:168
	;; [unrolled: 1-line block ×3, first 2 shown]
	s_wait_alu 0xf1ff
	v_cndmask_b32_e64 v39, 0, 0x480, s0
	v_add_co_u32 v49, s0, s8, v7
	s_wait_alu 0xf1ff
	v_add_co_ci_u32_e64 v50, s0, s9, v8, s0
	s_delay_alu instid0(VALU_DEP_3)
	v_add_nc_u32_e32 v7, 0, v39
	ds_load_2addr_b64 v[39:42], v61 offset0:112 offset1:136
	ds_load_b64 v[51:52], v13
	ds_load_b64 v[53:54], v12 offset:960
	v_lshlrev_b32_e32 v8, 3, v63
	v_add_co_u32 v55, s0, s8, v9
	s_wait_alu 0xf1ff
	v_add_co_ci_u32_e64 v56, s0, s9, v10, s0
	s_delay_alu instid0(VALU_DEP_3)
	v_add3_u32 v57, v7, v8, v14
	ds_load_2addr_b64 v[7:10], v12 offset0:24 offset1:48
	global_wb scope:SCOPE_SE
	s_wait_loadcnt_dscnt 0x0
	s_barrier_signal -1
	s_barrier_wait -1
	global_inv scope:SCOPE_SE
	v_mul_f32_e32 v59, v44, v38
	v_mul_f32_e32 v44, v44, v37
	;; [unrolled: 1-line block ×9, first 2 shown]
	v_dual_mul_f32 v22, v22, v33 :: v_dual_mul_f32 v63, v40, v46
	v_mul_f32_e32 v46, v39, v46
	v_mul_f32_e32 v64, v54, v24
	v_dual_mul_f32 v24, v53, v24 :: v_dual_mul_f32 v65, v36, v26
	v_mul_f32_e32 v26, v35, v26
	v_mul_f32_e32 v66, v42, v48
	;; [unrolled: 1-line block ×3, first 2 shown]
	v_fma_f32 v14, v15, v27, -v14
	v_fmac_f32_e32 v16, v15, v28
	v_fma_f32 v15, v17, v31, -v58
	v_fmac_f32_e32 v18, v17, v32
	;; [unrolled: 2-line block ×9, first 2 shown]
	v_dual_sub_f32 v29, v51, v15 :: v_dual_sub_f32 v30, v52, v18
	v_sub_f32_e32 v15, v14, v17
	v_sub_f32_e32 v17, v16, v44
	v_dual_sub_f32 v31, v7, v19 :: v_dual_sub_f32 v32, v8, v22
	v_dual_sub_f32 v18, v27, v21 :: v_dual_sub_f32 v19, v20, v46
	v_dual_sub_f32 v33, v9, v23 :: v_dual_sub_f32 v34, v10, v26
	v_sub_f32_e32 v21, v28, v25
	v_sub_f32_e32 v22, v24, v48
	v_fma_f32 v35, v51, 2.0, -v29
	v_fma_f32 v36, v52, 2.0, -v30
	;; [unrolled: 1-line block ×12, first 2 shown]
	v_dual_sub_f32 v14, v29, v17 :: v_dual_add_f32 v15, v30, v15
	v_dual_sub_f32 v16, v35, v23 :: v_dual_sub_f32 v17, v36, v25
	v_dual_sub_f32 v7, v31, v19 :: v_dual_add_f32 v8, v32, v18
	v_add_f32_e32 v10, v34, v21
	v_dual_sub_f32 v20, v37, v26 :: v_dual_sub_f32 v21, v38, v27
	v_dual_sub_f32 v9, v33, v22 :: v_dual_sub_f32 v24, v39, v28
	v_sub_f32_e32 v25, v40, v41
	v_fma_f32 v18, v29, 2.0, -v14
	v_fma_f32 v19, v30, 2.0, -v15
	;; [unrolled: 1-line block ×12, first 2 shown]
	ds_store_2addr_b64 v11, v[16:17], v[14:15] offset0:72 offset1:108
	ds_store_2addr_b64 v11, v[28:29], v[18:19] offset1:36
	ds_store_2addr_b64 v57, v[30:31], v[22:23] offset1:36
	ds_store_2addr_b64 v57, v[20:21], v[7:8] offset0:72 offset1:108
	ds_store_2addr_b64 v11, v[32:33], v[26:27] offset0:156 offset1:192
	;; [unrolled: 1-line block ×3, first 2 shown]
	global_wb scope:SCOPE_SE
	s_wait_dscnt 0x0
	s_barrier_signal -1
	s_barrier_wait -1
	global_inv scope:SCOPE_SE
	s_clause 0x5
	global_load_b64 v[30:31], v[49:50], off offset:1104
	global_load_b64 v[32:33], v[55:56], off offset:1296
	;; [unrolled: 1-line block ×6, first 2 shown]
	ds_load_2addr_b64 v[7:10], v11 offset0:144 offset1:168
	ds_load_2addr_b64 v[14:17], v11 offset0:192 offset1:216
	;; [unrolled: 1-line block ×5, first 2 shown]
	ds_load_b64 v[42:43], v13
	ds_load_b64 v[44:45], v12 offset:960
	v_add_nc_u32_e32 v46, 0x400, v12
	v_add_nc_u32_e32 v47, 0x800, v12
	global_wb scope:SCOPE_SE
	s_wait_loadcnt_dscnt 0x0
	s_barrier_signal -1
	s_barrier_wait -1
	global_inv scope:SCOPE_SE
	v_mul_f32_e32 v13, v31, v8
	v_dual_mul_f32 v31, v31, v7 :: v_dual_mul_f32 v48, v33, v10
	v_mul_f32_e32 v33, v33, v9
	v_mul_f32_e32 v49, v35, v15
	v_dual_mul_f32 v35, v35, v14 :: v_dual_mul_f32 v50, v37, v17
	v_mul_f32_e32 v37, v37, v16
	;; [unrolled: 3-line block ×3, first 2 shown]
	v_fma_f32 v7, v30, v7, -v13
	v_fmac_f32_e32 v31, v30, v8
	v_fma_f32 v9, v32, v9, -v48
	v_fmac_f32_e32 v33, v32, v10
	v_fma_f32 v10, v34, v14, -v49
	v_fmac_f32_e32 v35, v34, v15
	v_fma_f32 v13, v36, v16, -v50
	v_fmac_f32_e32 v37, v36, v17
	v_fma_f32 v14, v38, v18, -v51
	v_fmac_f32_e32 v39, v38, v19
	v_fma_f32 v15, v20, v40, -v52
	v_fmac_f32_e32 v41, v21, v40
	v_sub_f32_e32 v7, v42, v7
	v_sub_f32_e32 v8, v43, v31
	;; [unrolled: 1-line block ×3, first 2 shown]
	v_dual_sub_f32 v31, v23, v33 :: v_dual_sub_f32 v32, v24, v10
	v_dual_sub_f32 v33, v25, v35 :: v_dual_sub_f32 v34, v26, v13
	;; [unrolled: 1-line block ×3, first 2 shown]
	v_sub_f32_e32 v37, v29, v39
	v_dual_sub_f32 v39, v45, v41 :: v_dual_sub_f32 v38, v44, v15
	v_fma_f32 v9, v42, 2.0, -v7
	v_fma_f32 v10, v43, 2.0, -v8
	;; [unrolled: 1-line block ×12, first 2 shown]
	ds_store_2addr_b64 v11, v[9:10], v[7:8] offset1:144
	ds_store_2addr_b32 v46, v30, v31 offset0:80 offset1:81
	ds_store_2addr_b64 v12, v[13:14], v[15:16] offset0:24 offset1:48
	ds_store_2addr_b32 v46, v32, v33 offset0:128 offset1:129
	ds_store_2addr_b32 v46, v34, v35 offset0:176 offset1:177
	ds_store_2addr_b64 v12, v[17:18], v[19:20] offset0:72 offset1:96
	ds_store_2addr_b32 v46, v36, v37 offset0:224 offset1:225
	ds_store_b64 v12, v[21:22] offset:960
	ds_store_2addr_b32 v47, v38, v39 offset0:16 offset1:17
	global_wb scope:SCOPE_SE
	s_wait_dscnt 0x0
	s_barrier_signal -1
	s_barrier_wait -1
	global_inv scope:SCOPE_SE
	s_and_saveexec_b32 s0, vcc_lo
	s_cbranch_execz .LBB0_20
; %bb.19:
	v_mul_lo_u32 v7, s3, v5
	v_mul_lo_u32 v8, s2, v6
	v_mad_co_u64_u32 v[5:6], null, s2, v5, 0
	v_lshl_add_u32 v31, v3, 3, v0
	v_lshlrev_b64_e32 v[0:1], 3, v[1:2]
	v_dual_mov_b32 v10, v4 :: v_dual_add_nc_u32 v9, 24, v3
	v_lshlrev_b64_e32 v[13:14], 3, v[3:4]
	v_dual_mov_b32 v16, v4 :: v_dual_add_nc_u32 v15, 48, v3
	v_add3_u32 v6, v6, v8, v7
	s_delay_alu instid0(VALU_DEP_4) | instskip(SKIP_2) | instid1(VALU_DEP_4)
	v_lshlrev_b64_e32 v[19:20], 3, v[9:10]
	v_add_nc_u32_e32 v17, 0x48, v3
	v_dual_mov_b32 v22, v4 :: v_dual_add_nc_u32 v21, 0x78, v3
	v_lshlrev_b64_e32 v[11:12], 3, v[5:6]
	ds_load_2addr_b64 v[5:8], v31 offset1:24
	v_dual_mov_b32 v30, v4 :: v_dual_add_nc_u32 v29, 0xf0, v3
	v_add_co_u32 v2, vcc_lo, s6, v11
	s_wait_alu 0xfffd
	v_add_co_ci_u32_e32 v18, vcc_lo, s7, v12, vcc_lo
	ds_load_2addr_b64 v[9:12], v31 offset0:48 offset1:72
	v_add_co_u32 v33, vcc_lo, v2, v0
	s_wait_alu 0xfffd
	v_add_co_ci_u32_e32 v34, vcc_lo, v18, v1, vcc_lo
	v_mov_b32_e32 v18, v4
	v_lshlrev_b64_e32 v[0:1], 3, v[15:16]
	v_add_co_u32 v13, vcc_lo, v33, v13
	s_wait_alu 0xfffd
	v_add_co_ci_u32_e32 v14, vcc_lo, v34, v14, vcc_lo
	v_add_co_u32 v15, vcc_lo, v33, v19
	v_lshlrev_b64_e32 v[17:18], 3, v[17:18]
	s_wait_alu 0xfffd
	v_add_co_ci_u32_e32 v16, vcc_lo, v34, v20, vcc_lo
	v_add_co_u32 v0, vcc_lo, v33, v0
	s_wait_alu 0xfffd
	v_add_co_ci_u32_e32 v1, vcc_lo, v34, v1, vcc_lo
	v_dual_mov_b32 v20, v4 :: v_dual_add_nc_u32 v19, 0x60, v3
	v_add_co_u32 v17, vcc_lo, v33, v17
	s_wait_alu 0xfffd
	v_add_co_ci_u32_e32 v18, vcc_lo, v34, v18, vcc_lo
	s_wait_dscnt 0x1
	s_clause 0x1
	global_store_b64 v[13:14], v[5:6], off
	global_store_b64 v[15:16], v[7:8], off
	s_wait_dscnt 0x0
	s_clause 0x1
	global_store_b64 v[0:1], v[9:10], off
	global_store_b64 v[17:18], v[11:12], off
	v_lshlrev_b64_e32 v[0:1], 3, v[19:20]
	v_dual_mov_b32 v12, v4 :: v_dual_add_nc_u32 v11, 0x90, v3
	v_lshlrev_b64_e32 v[9:10], 3, v[21:22]
	v_dual_mov_b32 v16, v4 :: v_dual_add_nc_u32 v15, 0xa8, v3
	s_delay_alu instid0(VALU_DEP_4) | instskip(NEXT) | instid1(VALU_DEP_4)
	v_add_co_u32 v0, vcc_lo, v33, v0
	v_lshlrev_b64_e32 v[13:14], 3, v[11:12]
	s_wait_alu 0xfffd
	v_add_co_ci_u32_e32 v1, vcc_lo, v34, v1, vcc_lo
	v_add_co_u32 v21, vcc_lo, v33, v9
	s_wait_alu 0xfffd
	v_add_co_ci_u32_e32 v22, vcc_lo, v34, v10, vcc_lo
	v_add_co_u32 v23, vcc_lo, v33, v13
	v_dual_mov_b32 v18, v4 :: v_dual_add_nc_u32 v17, 0xc0, v3
	s_wait_alu 0xfffd
	v_add_co_ci_u32_e32 v24, vcc_lo, v34, v14, vcc_lo
	v_lshlrev_b64_e32 v[13:14], 3, v[15:16]
	ds_load_2addr_b64 v[5:8], v31 offset0:96 offset1:120
	v_lshlrev_b64_e32 v[17:18], 3, v[17:18]
	v_add_nc_u32_e32 v19, 0xd8, v3
	v_add_nc_u32_e32 v2, 0x400, v31
	ds_load_2addr_b64 v[9:12], v31 offset0:144 offset1:168
	v_add_co_u32 v25, vcc_lo, v33, v13
	s_wait_alu 0xfffd
	v_add_co_ci_u32_e32 v26, vcc_lo, v34, v14, vcc_lo
	ds_load_2addr_b64 v[13:16], v31 offset0:192 offset1:216
	v_add_co_u32 v31, vcc_lo, v33, v17
	v_lshlrev_b64_e32 v[27:28], 3, v[19:20]
	s_wait_alu 0xfffd
	v_add_co_ci_u32_e32 v32, vcc_lo, v34, v18, vcc_lo
	ds_load_2addr_b64 v[17:20], v2 offset0:112 offset1:136
	v_add_nc_u32_e32 v3, 0x108, v3
	v_lshlrev_b64_e32 v[29:30], 3, v[29:30]
	v_add_co_u32 v27, vcc_lo, v33, v27
	s_wait_alu 0xfffd
	v_add_co_ci_u32_e32 v28, vcc_lo, v34, v28, vcc_lo
	v_lshlrev_b64_e32 v[2:3], 3, v[3:4]
	s_delay_alu instid0(VALU_DEP_4) | instskip(SKIP_2) | instid1(VALU_DEP_3)
	v_add_co_u32 v29, vcc_lo, v33, v29
	s_wait_alu 0xfffd
	v_add_co_ci_u32_e32 v30, vcc_lo, v34, v30, vcc_lo
	v_add_co_u32 v2, vcc_lo, v33, v2
	s_wait_alu 0xfffd
	v_add_co_ci_u32_e32 v3, vcc_lo, v34, v3, vcc_lo
	s_wait_dscnt 0x3
	s_clause 0x1
	global_store_b64 v[0:1], v[5:6], off
	global_store_b64 v[21:22], v[7:8], off
	s_wait_dscnt 0x2
	s_clause 0x1
	global_store_b64 v[23:24], v[9:10], off
	global_store_b64 v[25:26], v[11:12], off
	;; [unrolled: 4-line block ×4, first 2 shown]
.LBB0_20:
	s_nop 0
	s_sendmsg sendmsg(MSG_DEALLOC_VGPRS)
	s_endpgm
	.section	.rodata,"a",@progbits
	.p2align	6, 0x0
	.amdhsa_kernel fft_rtc_fwd_len288_factors_6_6_4_2_wgs_120_tpt_24_halfLds_sp_op_CI_CI_unitstride_sbrr_C2R_dirReg
		.amdhsa_group_segment_fixed_size 0
		.amdhsa_private_segment_fixed_size 0
		.amdhsa_kernarg_size 104
		.amdhsa_user_sgpr_count 2
		.amdhsa_user_sgpr_dispatch_ptr 0
		.amdhsa_user_sgpr_queue_ptr 0
		.amdhsa_user_sgpr_kernarg_segment_ptr 1
		.amdhsa_user_sgpr_dispatch_id 0
		.amdhsa_user_sgpr_private_segment_size 0
		.amdhsa_wavefront_size32 1
		.amdhsa_uses_dynamic_stack 0
		.amdhsa_enable_private_segment 0
		.amdhsa_system_sgpr_workgroup_id_x 1
		.amdhsa_system_sgpr_workgroup_id_y 0
		.amdhsa_system_sgpr_workgroup_id_z 0
		.amdhsa_system_sgpr_workgroup_info 0
		.amdhsa_system_vgpr_workitem_id 0
		.amdhsa_next_free_vgpr 76
		.amdhsa_next_free_sgpr 39
		.amdhsa_reserve_vcc 1
		.amdhsa_float_round_mode_32 0
		.amdhsa_float_round_mode_16_64 0
		.amdhsa_float_denorm_mode_32 3
		.amdhsa_float_denorm_mode_16_64 3
		.amdhsa_fp16_overflow 0
		.amdhsa_workgroup_processor_mode 1
		.amdhsa_memory_ordered 1
		.amdhsa_forward_progress 0
		.amdhsa_round_robin_scheduling 0
		.amdhsa_exception_fp_ieee_invalid_op 0
		.amdhsa_exception_fp_denorm_src 0
		.amdhsa_exception_fp_ieee_div_zero 0
		.amdhsa_exception_fp_ieee_overflow 0
		.amdhsa_exception_fp_ieee_underflow 0
		.amdhsa_exception_fp_ieee_inexact 0
		.amdhsa_exception_int_div_zero 0
	.end_amdhsa_kernel
	.text
.Lfunc_end0:
	.size	fft_rtc_fwd_len288_factors_6_6_4_2_wgs_120_tpt_24_halfLds_sp_op_CI_CI_unitstride_sbrr_C2R_dirReg, .Lfunc_end0-fft_rtc_fwd_len288_factors_6_6_4_2_wgs_120_tpt_24_halfLds_sp_op_CI_CI_unitstride_sbrr_C2R_dirReg
                                        ; -- End function
	.section	.AMDGPU.csdata,"",@progbits
; Kernel info:
; codeLenInByte = 7044
; NumSgprs: 41
; NumVgprs: 76
; ScratchSize: 0
; MemoryBound: 0
; FloatMode: 240
; IeeeMode: 1
; LDSByteSize: 0 bytes/workgroup (compile time only)
; SGPRBlocks: 5
; VGPRBlocks: 9
; NumSGPRsForWavesPerEU: 41
; NumVGPRsForWavesPerEU: 76
; Occupancy: 16
; WaveLimiterHint : 1
; COMPUTE_PGM_RSRC2:SCRATCH_EN: 0
; COMPUTE_PGM_RSRC2:USER_SGPR: 2
; COMPUTE_PGM_RSRC2:TRAP_HANDLER: 0
; COMPUTE_PGM_RSRC2:TGID_X_EN: 1
; COMPUTE_PGM_RSRC2:TGID_Y_EN: 0
; COMPUTE_PGM_RSRC2:TGID_Z_EN: 0
; COMPUTE_PGM_RSRC2:TIDIG_COMP_CNT: 0
	.text
	.p2alignl 7, 3214868480
	.fill 96, 4, 3214868480
	.type	__hip_cuid_426d409f47fcf1e3,@object ; @__hip_cuid_426d409f47fcf1e3
	.section	.bss,"aw",@nobits
	.globl	__hip_cuid_426d409f47fcf1e3
__hip_cuid_426d409f47fcf1e3:
	.byte	0                               ; 0x0
	.size	__hip_cuid_426d409f47fcf1e3, 1

	.ident	"AMD clang version 19.0.0git (https://github.com/RadeonOpenCompute/llvm-project roc-6.4.0 25133 c7fe45cf4b819c5991fe208aaa96edf142730f1d)"
	.section	".note.GNU-stack","",@progbits
	.addrsig
	.addrsig_sym __hip_cuid_426d409f47fcf1e3
	.amdgpu_metadata
---
amdhsa.kernels:
  - .args:
      - .actual_access:  read_only
        .address_space:  global
        .offset:         0
        .size:           8
        .value_kind:     global_buffer
      - .offset:         8
        .size:           8
        .value_kind:     by_value
      - .actual_access:  read_only
        .address_space:  global
        .offset:         16
        .size:           8
        .value_kind:     global_buffer
      - .actual_access:  read_only
        .address_space:  global
        .offset:         24
        .size:           8
        .value_kind:     global_buffer
      - .actual_access:  read_only
        .address_space:  global
        .offset:         32
        .size:           8
        .value_kind:     global_buffer
      - .offset:         40
        .size:           8
        .value_kind:     by_value
      - .actual_access:  read_only
        .address_space:  global
        .offset:         48
        .size:           8
        .value_kind:     global_buffer
      - .actual_access:  read_only
        .address_space:  global
        .offset:         56
        .size:           8
        .value_kind:     global_buffer
      - .offset:         64
        .size:           4
        .value_kind:     by_value
      - .actual_access:  read_only
        .address_space:  global
        .offset:         72
        .size:           8
        .value_kind:     global_buffer
      - .actual_access:  read_only
        .address_space:  global
        .offset:         80
        .size:           8
        .value_kind:     global_buffer
      - .actual_access:  read_only
        .address_space:  global
        .offset:         88
        .size:           8
        .value_kind:     global_buffer
      - .actual_access:  write_only
        .address_space:  global
        .offset:         96
        .size:           8
        .value_kind:     global_buffer
    .group_segment_fixed_size: 0
    .kernarg_segment_align: 8
    .kernarg_segment_size: 104
    .language:       OpenCL C
    .language_version:
      - 2
      - 0
    .max_flat_workgroup_size: 120
    .name:           fft_rtc_fwd_len288_factors_6_6_4_2_wgs_120_tpt_24_halfLds_sp_op_CI_CI_unitstride_sbrr_C2R_dirReg
    .private_segment_fixed_size: 0
    .sgpr_count:     41
    .sgpr_spill_count: 0
    .symbol:         fft_rtc_fwd_len288_factors_6_6_4_2_wgs_120_tpt_24_halfLds_sp_op_CI_CI_unitstride_sbrr_C2R_dirReg.kd
    .uniform_work_group_size: 1
    .uses_dynamic_stack: false
    .vgpr_count:     76
    .vgpr_spill_count: 0
    .wavefront_size: 32
    .workgroup_processor_mode: 1
amdhsa.target:   amdgcn-amd-amdhsa--gfx1201
amdhsa.version:
  - 1
  - 2
...

	.end_amdgpu_metadata
